;; amdgpu-corpus repo=ROCm/rocFFT kind=compiled arch=gfx950 opt=O3
	.text
	.amdgcn_target "amdgcn-amd-amdhsa--gfx950"
	.amdhsa_code_object_version 6
	.protected	fft_rtc_back_len192_factors_2_2_6_8_wgs_256_tpt_16_dim2_sp_ip_CI_sbcc_twdbase8_3step_dirReg_intrinsicReadWrite ; -- Begin function fft_rtc_back_len192_factors_2_2_6_8_wgs_256_tpt_16_dim2_sp_ip_CI_sbcc_twdbase8_3step_dirReg_intrinsicReadWrite
	.globl	fft_rtc_back_len192_factors_2_2_6_8_wgs_256_tpt_16_dim2_sp_ip_CI_sbcc_twdbase8_3step_dirReg_intrinsicReadWrite
	.p2align	8
	.type	fft_rtc_back_len192_factors_2_2_6_8_wgs_256_tpt_16_dim2_sp_ip_CI_sbcc_twdbase8_3step_dirReg_intrinsicReadWrite,@function
fft_rtc_back_len192_factors_2_2_6_8_wgs_256_tpt_16_dim2_sp_ip_CI_sbcc_twdbase8_3step_dirReg_intrinsicReadWrite: ; @fft_rtc_back_len192_factors_2_2_6_8_wgs_256_tpt_16_dim2_sp_ip_CI_sbcc_twdbase8_3step_dirReg_intrinsicReadWrite
; %bb.0:
	s_load_dwordx4 s[4:7], s[0:1], 0x10
	s_mov_b32 s3, 0
	s_mov_b64 s[14:15], 0
	s_waitcnt lgkmcnt(0)
	s_load_dwordx2 s[12:13], s[4:5], 0x8
	s_load_dwordx2 s[8:9], s[0:1], 0x50
	;; [unrolled: 1-line block ×3, first 2 shown]
	s_waitcnt lgkmcnt(0)
	s_add_u32 s4, s12, -1
	s_addc_u32 s5, s13, -1
	s_lshr_b64 s[4:5], s[4:5], 4
	s_add_u32 s4, s4, 1
	s_addc_u32 s5, s5, 0
	v_mov_b64_e32 v[2:3], s[4:5]
	v_cmp_lt_u64_e32 vcc, s[2:3], v[2:3]
	s_cbranch_vccnz .LBB0_2
; %bb.1:
	v_cvt_f32_u32_e32 v1, s4
	s_sub_i32 s3, 0, s4
	v_rcp_iflag_f32_e32 v1, v1
	s_nop 0
	v_mul_f32_e32 v1, 0x4f7ffffe, v1
	v_cvt_u32_f32_e32 v1, v1
	s_nop 0
	v_readfirstlane_b32 s11, v1
	s_mul_i32 s3, s3, s11
	s_mul_hi_u32 s3, s11, s3
	s_add_i32 s11, s11, s3
	s_mul_hi_u32 s3, s2, s11
	s_mul_i32 s14, s3, s4
	s_sub_i32 s14, s2, s14
	s_add_i32 s11, s3, 1
	s_sub_i32 s15, s14, s4
	s_cmp_ge_u32 s14, s4
	s_cselect_b32 s3, s11, s3
	s_cselect_b32 s14, s15, s14
	s_add_i32 s11, s3, 1
	s_cmp_ge_u32 s14, s4
	s_cselect_b32 s14, s11, s3
.LBB0_2:
	s_mul_i32 s3, s14, s5
	s_mul_hi_u32 s5, s14, s4
	s_add_i32 s3, s5, s3
	s_mul_i32 s4, s14, s4
	s_sub_u32 s2, s2, s4
	s_load_dwordx4 s[4:7], s[6:7], 0x8
	s_subb_u32 s3, 0, s3
	s_lshl_b64 s[16:17], s[2:3], 4
	v_mov_b32_e32 v1, s2
	v_alignbit_b32 v1, s3, v1, 28
	s_waitcnt lgkmcnt(0)
	s_mul_i32 s2, s16, s5
	s_mul_hi_u32 s3, s16, s4
	v_mul_lo_u32 v1, v1, s4
	s_add_i32 s3, s3, s2
	s_mul_i32 s2, s16, s4
	v_add_u32_e32 v3, s3, v1
	v_mov_b32_e32 v2, s2
	s_mul_i32 s2, s7, s14
	s_mul_hi_u32 s3, s6, s14
	s_add_i32 s3, s3, s2
	s_mul_i32 s2, s6, s14
	v_lshl_add_u64 v[40:41], s[2:3], 0, v[2:3]
	s_add_u32 s2, s16, 16
	v_and_b32_e32 v26, 15, v0
	s_addc_u32 s3, s17, 0
	v_mov_b64_e32 v[2:3], s[12:13]
	v_or_b32_e32 v38, s16, v26
	v_mov_b32_e32 v39, s17
	v_cmp_le_u64_e32 vcc, s[2:3], v[2:3]
	v_mad_u64_u32 v[42:43], s[2:3], s4, v26, 0
	v_cmp_gt_u64_e64 s[2:3], s[12:13], v[38:39]
	v_lshrrev_b32_e32 v41, 4, v0
	s_or_b64 s[12:13], vcc, s[2:3]
	v_mov_b32_e32 v4, 0
	v_mov_b32_e32 v2, 0
	v_mov_b32_e32 v3, 0
	s_and_saveexec_b64 s[4:5], s[12:13]
	s_cbranch_execz .LBB0_4
; %bb.3:
	v_mul_lo_u32 v1, s10, v41
	v_add3_u32 v2, v40, v42, v1
	v_mov_b32_e32 v3, 0
	v_lshl_add_u64 v[2:3], v[2:3], 3, s[8:9]
	global_load_dwordx2 v[2:3], v[2:3], off
.LBB0_4:
	s_or_b64 exec, exec, s[4:5]
	v_mov_b32_e32 v5, 0
	s_and_saveexec_b64 s[4:5], s[12:13]
	s_cbranch_execz .LBB0_6
; %bb.5:
	v_or_b32_e32 v1, 0x60, v41
	v_mul_lo_u32 v1, s10, v1
	v_add3_u32 v4, v40, v42, v1
	v_mov_b32_e32 v5, 0
	v_lshl_add_u64 v[4:5], v[4:5], 3, s[8:9]
	global_load_dwordx2 v[4:5], v[4:5], off
.LBB0_6:
	s_or_b64 exec, exec, s[4:5]
	v_or_b32_e32 v1, 16, v41
	v_mov_b32_e32 v8, 0
	v_mov_b32_e32 v6, 0
	v_mov_b32_e32 v7, 0
	s_and_saveexec_b64 s[4:5], s[12:13]
	s_cbranch_execz .LBB0_8
; %bb.7:
	v_mul_lo_u32 v6, s10, v1
	v_add3_u32 v6, v40, v42, v6
	v_mov_b32_e32 v7, 0
	v_lshl_add_u64 v[6:7], v[6:7], 3, s[8:9]
	global_load_dwordx2 v[6:7], v[6:7], off
.LBB0_8:
	s_or_b64 exec, exec, s[4:5]
	v_mov_b32_e32 v9, 0
	s_and_saveexec_b64 s[4:5], s[12:13]
	s_cbranch_execz .LBB0_10
; %bb.9:
	v_or_b32_e32 v8, 0x70, v41
	v_mul_lo_u32 v8, s10, v8
	v_add3_u32 v8, v40, v42, v8
	v_mov_b32_e32 v9, 0
	v_lshl_add_u64 v[8:9], v[8:9], 3, s[8:9]
	global_load_dwordx2 v[8:9], v[8:9], off
.LBB0_10:
	s_or_b64 exec, exec, s[4:5]
	v_or_b32_e32 v27, 32, v41
	;; [unrolled: 26-line block ×3, first 2 shown]
	v_mov_b32_e32 v16, 0
	v_mov_b32_e32 v14, 0
	;; [unrolled: 1-line block ×3, first 2 shown]
	s_and_saveexec_b64 s[4:5], s[12:13]
	s_cbranch_execz .LBB0_16
; %bb.15:
	v_mul_lo_u32 v14, s10, v39
	v_add3_u32 v14, v40, v42, v14
	v_mov_b32_e32 v15, 0
	v_lshl_add_u64 v[14:15], v[14:15], 3, s[8:9]
	global_load_dwordx2 v[14:15], v[14:15], off
.LBB0_16:
	s_or_b64 exec, exec, s[4:5]
	v_mov_b32_e32 v17, 0
	s_and_saveexec_b64 s[4:5], s[12:13]
	s_cbranch_execz .LBB0_18
; %bb.17:
	v_or_b32_e32 v16, 0x90, v41
	v_mul_lo_u32 v16, s10, v16
	v_add3_u32 v16, v40, v42, v16
	v_mov_b32_e32 v17, 0
	v_lshl_add_u64 v[16:17], v[16:17], 3, s[8:9]
	global_load_dwordx2 v[16:17], v[16:17], off
.LBB0_18:
	s_or_b64 exec, exec, s[4:5]
	v_mov_b32_e32 v20, 0
	v_or_b32_e32 v28, 64, v41
	v_mov_b32_e32 v18, 0
	v_mov_b32_e32 v19, 0
	s_and_saveexec_b64 s[4:5], s[12:13]
	s_cbranch_execz .LBB0_20
; %bb.19:
	v_mul_lo_u32 v18, s10, v28
	v_add3_u32 v18, v40, v42, v18
	v_mov_b32_e32 v19, 0
	v_lshl_add_u64 v[18:19], v[18:19], 3, s[8:9]
	global_load_dwordx2 v[18:19], v[18:19], off
.LBB0_20:
	s_or_b64 exec, exec, s[4:5]
	v_mov_b32_e32 v21, 0
	s_and_saveexec_b64 s[4:5], s[12:13]
	s_cbranch_execz .LBB0_22
; %bb.21:
	v_or_b32_e32 v20, 0xa0, v41
	v_mul_lo_u32 v20, s10, v20
	v_add3_u32 v20, v40, v42, v20
	v_mov_b32_e32 v21, 0
	v_lshl_add_u64 v[20:21], v[20:21], 3, s[8:9]
	global_load_dwordx2 v[20:21], v[20:21], off
.LBB0_22:
	s_or_b64 exec, exec, s[4:5]
	s_load_dwordx2 s[6:7], s[0:1], 0x0
	v_or_b32_e32 v29, 0x50, v41
	v_mov_b32_e32 v24, 0
	v_mov_b32_e32 v22, 0
	;; [unrolled: 1-line block ×3, first 2 shown]
	s_and_saveexec_b64 s[4:5], s[12:13]
	s_cbranch_execz .LBB0_24
; %bb.23:
	v_mul_lo_u32 v22, s10, v29
	v_add3_u32 v22, v40, v42, v22
	v_mov_b32_e32 v23, 0
	v_lshl_add_u64 v[22:23], v[22:23], 3, s[8:9]
	global_load_dwordx2 v[22:23], v[22:23], off
.LBB0_24:
	s_or_b64 exec, exec, s[4:5]
	v_mov_b32_e32 v25, 0
	s_and_saveexec_b64 s[4:5], s[12:13]
	s_cbranch_execz .LBB0_26
; %bb.25:
	v_or_b32_e32 v24, 0xb0, v41
	v_mul_lo_u32 v24, s10, v24
	v_add3_u32 v24, v40, v42, v24
	v_mov_b32_e32 v25, 0
	v_lshl_add_u64 v[24:25], v[24:25], 3, s[8:9]
	global_load_dwordx2 v[24:25], v[24:25], off
.LBB0_26:
	s_or_b64 exec, exec, s[4:5]
	s_waitcnt vmcnt(0)
	v_pk_add_f32 v[4:5], v[2:3], v[4:5] neg_lo:[0,1] neg_hi:[0,1]
	v_pk_add_f32 v[30:31], v[22:23], v[24:25] neg_lo:[0,1] neg_hi:[0,1]
	v_lshlrev_b32_e32 v25, 8, v41
	v_lshlrev_b32_e32 v24, 3, v26
	v_add3_u32 v25, 0, v25, v24
	v_pk_fma_f32 v[2:3], v[2:3], 2.0, v[4:5] op_sel_hi:[1,0,1] neg_lo:[0,0,1] neg_hi:[0,0,1]
	v_pk_add_f32 v[8:9], v[6:7], v[8:9] neg_lo:[0,1] neg_hi:[0,1]
	ds_write2_b64 v25, v[2:3], v[4:5] offset1:16
	v_lshlrev_b32_e32 v2, 8, v1
	v_add3_u32 v25, 0, v2, v24
	v_pk_fma_f32 v[2:3], v[6:7], 2.0, v[8:9] op_sel_hi:[1,0,1] neg_lo:[0,0,1] neg_hi:[0,0,1]
	v_pk_add_f32 v[12:13], v[10:11], v[12:13] neg_lo:[0,1] neg_hi:[0,1]
	ds_write2_b64 v25, v[2:3], v[8:9] offset1:16
	;; [unrolled: 5-line block ×4, first 2 shown]
	v_lshlrev_b32_e32 v2, 8, v28
	v_add3_u32 v16, 0, v2, v24
	v_pk_fma_f32 v[2:3], v[18:19], 2.0, v[20:21] op_sel_hi:[1,0,1] neg_lo:[0,0,1] neg_hi:[0,0,1]
	ds_write2_b64 v16, v[2:3], v[20:21] offset1:16
	v_lshlrev_b32_e32 v2, 8, v29
	v_add3_u32 v17, 0, v2, v24
	v_pk_fma_f32 v[2:3], v[22:23], 2.0, v[30:31] op_sel_hi:[1,0,1] neg_lo:[0,0,1] neg_hi:[0,0,1]
	v_bfe_u32 v36, v0, 4, 1
	ds_write2_b64 v17, v[2:3], v[30:31] offset1:16
	v_lshlrev_b32_e32 v2, 3, v36
	s_waitcnt lgkmcnt(0)
	s_barrier
	global_load_dwordx2 v[14:15], v2, s[6:7]
	v_lshlrev_b32_e32 v37, 1, v41
	v_and_or_b32 v37, v37, 28, v36
	v_lshlrev_b32_e32 v37, 7, v37
	v_add3_u32 v44, 0, v37, v24
	v_lshlrev_b32_e32 v37, 1, v1
	v_and_or_b32 v37, v37, 60, v36
	v_and_b32_e32 v2, 0xf0, v0
	v_lshlrev_b32_e32 v18, 7, v28
	v_lshlrev_b32_e32 v37, 7, v37
	;; [unrolled: 1-line block ×5, first 2 shown]
	v_sub_u32_e32 v43, v16, v18
	v_lshlrev_b32_e32 v16, 7, v29
	v_add3_u32 v45, 0, v37, v24
	v_lshlrev_b32_e32 v27, 1, v27
	s_movk_i32 s4, 0x7c
	v_lshlrev_b32_e32 v37, 1, v39
	v_add3_u32 v20, 0, v2, v24
	v_sub_u32_e32 v21, v25, v6
	v_sub_u32_e32 v25, v26, v11
	v_lshlrev_b32_e32 v11, 7, v39
	v_sub_u32_e32 v30, v17, v16
	v_and_or_b32 v27, v27, s4, v36
	v_and_or_b32 v37, v37, s4, v36
	v_lshlrev_b32_e32 v28, 1, v28
	s_movk_i32 s4, 0x9c
	ds_read2st64_b64 v[2:5], v20 offset1:24
	ds_read2st64_b64 v[6:9], v20 offset0:28 offset1:32
	v_sub_u32_e32 v26, v10, v11
	ds_read2st64_b64 v[10:13], v20 offset0:36 offset1:40
	ds_read_b64 v[16:17], v25
	ds_read_b64 v[18:19], v26
	;; [unrolled: 1-line block ×5, first 2 shown]
	ds_read_b64 v[34:35], v20 offset:22528
	v_and_or_b32 v28, v28, s4, v36
	v_lshlrev_b32_e32 v28, 7, v28
	v_add3_u32 v47, 0, v28, v24
	v_lshlrev_b32_e32 v28, 1, v29
	s_movk_i32 s4, 0xfc
	v_and_or_b32 v28, v28, s4, v36
	v_lshlrev_b32_e32 v28, 7, v28
	v_lshlrev_b32_e32 v37, 7, v37
	v_add3_u32 v48, 0, v28, v24
	v_add3_u32 v46, 0, v37, v24
	v_lshlrev_b32_e32 v27, 7, v27
	v_bfe_u32 v64, v0, 4, 2
	v_add3_u32 v27, 0, v27, v24
	s_waitcnt lgkmcnt(0)
	s_barrier
	s_mov_b32 s14, 0.5
	s_mov_b32 s4, 0x3f5db3d7
	s_mov_b32 s5, s14
	;; [unrolled: 1-line block ×3, first 2 shown]
	s_waitcnt vmcnt(0)
	v_pk_mul_f32 v[28:29], v[14:15], v[34:35] op_sel:[0,1]
	s_nop 0
	v_pk_fma_f32 v[36:37], v[14:15], v[34:35], v[28:29] op_sel:[0,0,1] op_sel_hi:[1,1,0]
	v_pk_fma_f32 v[28:29], v[14:15], v[34:35], v[28:29] op_sel:[0,0,1] op_sel_hi:[1,0,0] neg_lo:[1,0,0] neg_hi:[1,0,0]
	v_pk_mul_f32 v[34:35], v[14:15], v[12:13] op_sel:[0,1]
	v_mov_b32_e32 v37, v29
	v_pk_add_f32 v[28:29], v[30:31], v[36:37] neg_lo:[0,1] neg_hi:[0,1]
	v_pk_fma_f32 v[36:37], v[14:15], v[12:13], v[34:35] op_sel:[0,0,1] op_sel_hi:[1,1,0]
	v_pk_fma_f32 v[12:13], v[14:15], v[12:13], v[34:35] op_sel:[0,0,1] op_sel_hi:[1,0,0] neg_lo:[1,0,0] neg_hi:[1,0,0]
	v_pk_mul_f32 v[34:35], v[14:15], v[10:11] op_sel:[0,1]
	v_mov_b32_e32 v37, v13
	v_pk_add_f32 v[12:13], v[22:23], v[36:37] neg_lo:[0,1] neg_hi:[0,1]
	;; [unrolled: 5-line block ×5, first 2 shown]
	v_pk_fma_f32 v[36:37], v[14:15], v[4:5], v[34:35] op_sel:[0,0,1] op_sel_hi:[1,1,0]
	v_pk_fma_f32 v[4:5], v[14:15], v[4:5], v[34:35] op_sel:[0,0,1] op_sel_hi:[1,0,0] neg_lo:[1,0,0] neg_hi:[1,0,0]
	v_pk_fma_f32 v[30:31], v[30:31], 2.0, v[28:29] op_sel_hi:[1,0,1] neg_lo:[0,0,1] neg_hi:[0,0,1]
	v_mov_b32_e32 v37, v5
	v_pk_add_f32 v[4:5], v[2:3], v[36:37] neg_lo:[0,1] neg_hi:[0,1]
	v_pk_fma_f32 v[22:23], v[22:23], 2.0, v[12:13] op_sel_hi:[1,0,1] neg_lo:[0,0,1] neg_hi:[0,0,1]
	v_pk_fma_f32 v[2:3], v[2:3], 2.0, v[4:5] op_sel_hi:[1,0,1] neg_lo:[0,0,1] neg_hi:[0,0,1]
	;; [unrolled: 1-line block ×5, first 2 shown]
	ds_write2_b64 v44, v[2:3], v[4:5] offset1:32
	ds_write2_b64 v45, v[32:33], v[6:7] offset1:32
	;; [unrolled: 1-line block ×6, first 2 shown]
	v_mul_u32_u24_e32 v2, 5, v64
	v_lshlrev_b32_e32 v2, 3, v2
	s_waitcnt lgkmcnt(0)
	s_barrier
	global_load_dwordx4 v[6:9], v2, s[6:7] offset:16
	global_load_dwordx4 v[28:31], v2, s[6:7] offset:32
	global_load_dwordx2 v[14:15], v2, s[6:7] offset:48
	ds_read2st64_b64 v[2:5], v20 offset1:12
	ds_read_b64 v[16:17], v25
	ds_read_b64 v[18:19], v43
	ds_read2st64_b64 v[32:35], v20 offset0:20 offset1:24
	ds_read2st64_b64 v[44:47], v20 offset0:28 offset1:32
	;; [unrolled: 1-line block ×3, first 2 shown]
	s_waitcnt lgkmcnt(5)
	v_mov_b32_e32 v23, v4
	s_waitcnt vmcnt(2)
	v_pk_mul_f32 v[36:37], v[4:5], v[6:7]
	s_waitcnt vmcnt(1)
	v_mov_b32_e32 v27, v28
	s_waitcnt lgkmcnt(2)
	v_pk_mul_f32 v[54:55], v[28:29], v[34:35] op_sel:[0,1]
	v_mov_b32_e32 v56, v31
	s_waitcnt lgkmcnt(1)
	v_pk_mul_f32 v[50:51], v[44:45], v[28:29]
	v_pk_mul_f32 v[52:53], v[44:45], v[28:29] op_sel:[1,0] op_sel_hi:[0,1]
	v_pk_fma_f32 v[62:63], v[28:29], v[34:35], v[54:55] op_sel:[0,0,1] op_sel_hi:[1,1,0]
	v_pk_fma_f32 v[28:29], v[28:29], v[34:35], v[54:55] op_sel:[0,0,1] op_sel_hi:[1,0,0] neg_lo:[1,0,0] neg_hi:[1,0,0]
	v_pk_mul_f32 v[34:35], v[44:45], v[26:27] op_sel:[1,0] op_sel_hi:[0,1]
	s_waitcnt lgkmcnt(0)
	v_pk_mul_f32 v[44:45], v[10:11], v[56:57] op_sel:[1,0] op_sel_hi:[0,1]
	v_mov_b32_e32 v50, v37
	v_mov_b32_e32 v34, v36
	v_pk_fma_f32 v[36:37], v[10:11], v[30:31], v[44:45]
	ds_read_b64 v[44:45], v20 offset:22528
	v_mov_b32_e32 v25, v6
	v_pk_mul_f32 v[58:59], v[30:31], v[46:47] op_sel:[0,1]
	v_pk_mul_f32 v[4:5], v[4:5], v[24:25]
	v_pk_fma_f32 v[54:55], v[30:31], v[46:47], v[58:59] op_sel:[0,0,1] op_sel_hi:[1,0,0]
	v_pk_add_f32 v[34:35], v[34:35], v[50:51]
	v_pk_fma_f32 v[46:47], v[30:31], v[46:47], v[58:59] op_sel:[0,0,1] op_sel_hi:[1,0,0] neg_lo:[1,0,0] neg_hi:[1,0,0]
	v_pk_mul_f32 v[10:11], v[10:11], v[30:31] op_sel:[1,0] op_sel_hi:[0,1]
	ds_read_b64 v[30:31], v21
	s_waitcnt vmcnt(0) lgkmcnt(1)
	v_pk_mul_f32 v[50:51], v[44:45], v[14:15] op_sel:[1,0] op_sel_hi:[0,1]
	v_mov_b32_e32 v25, v14
	v_mov_b32_e32 v56, v52
	;; [unrolled: 1-line block ×4, first 2 shown]
	v_pk_mul_f32 v[52:53], v[44:45], v[24:25] op_sel:[1,0] op_sel_hi:[0,1]
	v_pk_mul_f32 v[44:45], v[44:45], v[14:15]
	v_mov_b32_e32 v52, v34
	v_mov_b32_e32 v44, v35
	v_pk_add_f32 v[44:45], v[52:53], v[44:45]
	v_pk_mul_f32 v[22:23], v[22:23], v[6:7]
	v_mov_b32_e32 v4, v45
	v_mov_b32_e32 v22, v9
	v_pk_mul_f32 v[48:49], v[32:33], v[8:9] op_sel:[1,0] op_sel_hi:[0,1]
	v_pk_add_f32 v[52:53], v[44:45], v[4:5]
	v_add_f32_e32 v4, v35, v45
	v_pk_mul_f32 v[60:61], v[32:33], v[22:23] op_sel:[1,0] op_sel_hi:[0,1]
	v_pk_add_f32 v[50:51], v[56:57], v[50:51] neg_lo:[0,1] neg_hi:[0,1]
	v_mul_f32_e32 v57, 0.5, v4
	v_mov_b32_e32 v4, v48
	v_mov_b32_e32 v22, v49
	v_pk_add_f32 v[4:5], v[4:5], v[22:23] neg_lo:[0,1] neg_hi:[0,1]
	v_mov_b32_e32 v22, v10
	v_mov_b32_e32 v23, v34
	;; [unrolled: 1-line block ×3, first 2 shown]
	v_pk_fma_f32 v[32:33], v[32:33], v[8:9], v[60:61]
	v_sub_f32_e32 v25, v50, v51
	v_pk_add_f32 v[10:11], v[22:23], v[56:57] neg_lo:[0,1] neg_hi:[0,1]
	v_mul_f32_e32 v49, 0x3f5db3d7, v25
	v_fmamk_f32 v22, v25, 0xbf5db3d7, v11
	v_sub_f32_e32 v25, v35, v45
	s_waitcnt lgkmcnt(0)
	v_pk_add_f32 v[44:45], v[30:31], v[32:33]
	v_mov_b32_e32 v33, v4
	v_pk_add_f32 v[58:59], v[44:45], v[36:37]
	v_mov_b32_e32 v37, v10
	v_add_f32_e32 v23, v50, v51
	v_mov_b32_e32 v35, v32
	v_pk_add_f32 v[32:33], v[32:33], v[36:37]
	v_mov_b32_e32 v48, v4
	v_fma_f32 v34, -0.5, v23, v5
	v_mov_b32_e32 v37, v36
	v_mul_f32_e32 v36, 0x3f5db3d7, v25
	v_pk_fma_f32 v[32:33], -0.5, v[32:33], v[30:31] op_sel_hi:[0,1,1]
	v_mov_b32_e32 v30, v31
	v_mov_b32_e32 v31, v50
	v_pk_add_f32 v[56:57], v[4:5], v[10:11] neg_lo:[0,1] neg_hi:[0,1]
	v_pk_add_f32 v[48:49], v[48:49], v[10:11]
	v_mov_b32_e32 v11, v51
	v_pk_add_f32 v[36:37], v[34:35], v[36:37] neg_lo:[0,1] neg_hi:[0,1]
	v_fmac_f32_e32 v34, 0x3f5db3d7, v25
	v_pk_add_f32 v[4:5], v[30:31], v[4:5]
	v_mul_f32_e32 v23, 0.5, v36
	v_pk_add_f32 v[10:11], v[4:5], v[10:11]
	v_pk_mul_f32 v[4:5], v[34:35], s[4:5] op_sel_hi:[0,1]
	v_mov_b32_e32 v57, v49
	v_pk_fma_f32 v[30:31], v[22:23], s[14:15], v[4:5] neg_lo:[0,0,1] neg_hi:[0,0,1]
	v_pk_fma_f32 v[4:5], v[22:23], s[14:15], v[4:5] op_sel_hi:[0,1,1]
	v_mul_f32_e32 v44, -0.5, v49
	v_mov_b32_e32 v31, v5
	v_pk_fma_f32 v[34:35], v[56:57], s[4:5], v[32:33] op_sel_hi:[1,0,1] neg_lo:[1,0,0] neg_hi:[1,0,0]
	v_pk_fma_f32 v[4:5], v[36:37], s[4:5], v[32:33] op_sel_hi:[1,0,1]
	v_mov_b32_e32 v45, v33
	v_mov_b32_e32 v22, v32
	;; [unrolled: 1-line block ×3, first 2 shown]
	v_pk_fma_f32 v[36:37], v[36:37], s[4:5], v[44:45] op_sel_hi:[1,0,1] neg_lo:[1,0,0] neg_hi:[1,0,0]
	v_pk_fma_f32 v[32:33], v[56:57], s[4:5], v[32:33] op_sel_hi:[1,0,1]
	v_pk_fma_f32 v[22:23], v[48:49], s[4:5], v[22:23] op_sel_hi:[1,0,1] neg_lo:[0,0,1] neg_hi:[0,0,1]
	v_pk_add_f32 v[50:51], v[34:35], v[30:31]
	v_mov_b32_e32 v33, v23
	v_pk_add_f32 v[4:5], v[34:35], v[30:31] neg_lo:[0,1] neg_hi:[0,1]
	v_mov_b32_e32 v35, v37
	v_mov_b32_e32 v31, v23
	;; [unrolled: 1-line block ×4, first 2 shown]
	v_pk_add_f32 v[44:45], v[34:35], v[30:31] neg_lo:[0,1] neg_hi:[0,1]
	v_pk_mul_f32 v[30:31], v[6:7], v[22:23]
	v_mov_b32_e32 v18, v19
	v_mov_b32_e32 v4, v31
	v_pk_mul_f32 v[30:31], v[14:15], v[12:13] op_sel:[0,1]
	v_mov_b32_e32 v19, v16
	v_pk_fma_f32 v[16:17], v[6:7], v[16:17], v[4:5] op_sel_hi:[1,0,1]
	v_pk_fma_f32 v[34:35], v[14:15], v[12:13], v[30:31] op_sel:[0,0,1] op_sel_hi:[1,1,0]
	v_pk_fma_f32 v[12:13], v[14:15], v[12:13], v[30:31] op_sel:[0,0,1] op_sel_hi:[1,0,0] neg_lo:[1,0,0] neg_hi:[1,0,0]
	v_mov_b32_e32 v15, v6
	v_mov_b32_e32 v6, v9
	;; [unrolled: 1-line block ×3, first 2 shown]
	v_pk_mul_f32 v[6:7], v[6:7], v[18:19]
	v_mov_b32_e32 v63, v29
	v_mov_b32_e32 v35, v13
	v_pk_fma_f32 v[30:31], v[14:15], v[22:23], v[6:7]
	v_pk_fma_f32 v[14:15], v[14:15], v[22:23], v[6:7] neg_lo:[0,0,1] neg_hi:[0,0,1]
	v_pk_mul_f32 v[6:7], v[8:9], v[18:19]
	v_pk_add_f32 v[12:13], v[62:63], v[34:35]
	v_mov_b32_e32 v23, 0.5
	v_mov_b32_e32 v7, v16
	v_mul_f32_e32 v13, 0.5, v13
	v_mov_b32_e32 v8, v9
	v_mov_b32_e32 v9, v12
	;; [unrolled: 1-line block ×3, first 2 shown]
	v_pk_add_f32 v[18:19], v[62:63], v[34:35] neg_lo:[0,1] neg_hi:[0,1]
	v_pk_fma_f32 v[8:9], v[8:9], v[22:23], v[6:7] neg_lo:[1,0,0] neg_hi:[1,0,0]
	v_pk_add_f32 v[6:7], v[30:31], v[54:55]
	v_pk_add_f32 v[12:13], v[14:15], v[12:13] neg_lo:[0,1] neg_hi:[0,1]
	v_mul_f32_e32 v29, 0x3f5db3d7, v18
	v_mov_b32_e32 v7, v13
	v_mov_b32_e32 v28, v23
	v_pk_add_f32 v[48:49], v[6:7], v[28:29] neg_lo:[0,1] neg_hi:[0,1]
	v_pk_fma_f32 v[28:29], v[6:7], v[28:29], v[2:3] neg_lo:[1,0,0] neg_hi:[1,0,0]
	v_mov_b32_e32 v6, v30
	v_mov_b32_e32 v7, v8
	;; [unrolled: 1-line block ×3, first 2 shown]
	v_pk_add_f32 v[6:7], v[2:3], v[6:7]
	v_add_f32_e32 v4, v8, v47
	v_pk_add_f32 v[56:57], v[6:7], v[46:47]
	v_pk_add_f32 v[6:7], v[30:31], v[54:55] neg_lo:[0,1] neg_hi:[0,1]
	v_mov_b32_e32 v60, v47
	v_mul_f32_e32 v47, 0.5, v4
	v_lshrrev_b32_e32 v4, 6, v0
	v_lshrrev_b32_e32 v7, 2, v1
	v_mul_f32_e32 v61, 0x3f5db3d7, v19
	v_mul_u32_u24_e32 v4, 24, v4
	v_mul_u32_u24_e32 v7, 24, v7
	v_pk_add_f32 v[30:31], v[8:9], v[60:61]
	v_or_b32_e32 v4, v4, v64
	v_or_b32_e32 v7, v7, v64
	v_mov_b32_e32 v46, v31
	v_mov_b32_e32 v55, v3
	v_mov_b32_e32 v54, -0.5
	v_lshlrev_b32_e32 v4, 7, v4
	v_lshlrev_b32_e32 v7, 7, v7
	v_mov_b32_e32 v22, v2
	v_pk_add_f32 v[2:3], v[2:3], v[46:47] neg_lo:[0,1] neg_hi:[0,1]
	v_pk_mul_f32 v[54:55], v[54:55], v[46:47]
	v_add3_u32 v4, 0, v4, v24
	v_add3_u32 v27, 0, v7, v24
	v_mov_b32_e32 v24, v49
	v_mov_b32_e32 v25, v6
	v_pk_add_f32 v[46:47], v[32:33], v[36:37]
	v_pk_add_f32 v[6:7], v[32:33], v[36:37] neg_lo:[0,1] neg_hi:[0,1]
	v_pk_add_f32 v[32:33], v[8:9], v[60:61] neg_lo:[0,1] neg_hi:[0,1]
	v_pk_mul_f32 v[22:23], v[22:23], v[48:49]
	v_mov_b32_e32 v30, v32
	v_mov_b32_e32 v55, v3
	v_pk_fma_f32 v[2:3], v[24:25], s[4:5], v[2:3] op_sel_hi:[1,0,1]
	v_mov_b32_e32 v17, v15
	v_fmac_f32_e32 v13, 0x3f5db3d7, v18
	v_fmac_f32_e32 v9, 0xbf5db3d7, v19
	v_pk_add_f32 v[14:15], v[16:17], v[62:63]
	v_mul_f32_e32 v2, 0xbf5db3d7, v13
	v_mul_f32_e32 v7, 0.5, v13
	v_pk_fma_f32 v[12:13], v[30:31], s[4:5], v[28:29] op_sel_hi:[1,0,1]
	v_pk_fma_f32 v[22:23], v[30:31], s[4:5], v[22:23] op_sel_hi:[1,0,1] neg_lo:[0,0,1] neg_hi:[0,0,1]
	v_pk_fma_f32 v[32:33], v[32:33], s[4:5], v[28:29] op_sel_hi:[1,0,1] neg_lo:[1,0,0] neg_hi:[1,0,0]
	v_pk_add_f32 v[14:15], v[14:15], v[34:35]
	v_fmac_f32_e32 v2, 0.5, v9
	v_pk_fma_f32 v[18:19], v[24:25], s[4:5], v[54:55] op_sel_hi:[1,0,1] neg_lo:[1,0,0] neg_hi:[1,0,0]
	v_fmac_f32_e32 v7, 0x3f5db3d7, v9
	v_mov_b32_e32 v13, v23
	v_pk_add_f32 v[16:17], v[56:57], v[14:15]
	v_add_f32_e32 v8, v32, v2
	v_add_f32_e32 v9, v3, v7
	v_pk_add_f32 v[24:25], v[12:13], v[18:19]
	v_mov_b32_e32 v13, v19
	v_mov_b32_e32 v19, v23
	s_barrier
	v_sub_f32_e32 v2, v32, v2
	v_pk_add_f32 v[14:15], v[56:57], v[14:15] neg_lo:[0,1] neg_hi:[0,1]
	v_sub_f32_e32 v3, v3, v7
	ds_write2st64_b64 v4, v[16:17], v[8:9] offset1:1
	ds_write2st64_b64 v4, v[24:25], v[14:15] offset0:2 offset1:3
	v_pk_add_f32 v[8:9], v[12:13], v[18:19] neg_lo:[0,1] neg_hi:[0,1]
	v_mov_b32_e32 v59, v10
	v_mov_b32_e32 v53, v11
	ds_write2st64_b64 v4, v[2:3], v[8:9] offset0:4 offset1:5
	v_pk_add_f32 v[2:3], v[58:59], v[52:53]
	ds_write2st64_b64 v27, v[2:3], v[50:51] offset1:1
	v_pk_add_f32 v[2:3], v[58:59], v[52:53] neg_lo:[0,1] neg_hi:[0,1]
	v_mov_b32_e32 v4, v44
	v_mov_b32_e32 v7, v45
	ds_write2st64_b64 v27, v[46:47], v[2:3] offset0:2 offset1:3
	ds_write2st64_b64 v27, v[4:5], v[6:7] offset0:4 offset1:5
	s_waitcnt lgkmcnt(0)
	s_barrier
	ds_read2st64_b64 v[14:17], v20 offset1:6
	ds_read2st64_b64 v[22:25], v20 offset0:18 offset1:24
	ds_read2st64_b64 v[30:33], v20 offset0:30 offset1:36
	ds_read_b64 v[102:103], v26
	ds_read_b64 v[92:93], v20 offset:21504
	s_movk_i32 s4, 0x7f
	v_cmp_lt_u32_e64 s[4:5], s4, v0
	s_and_saveexec_b64 s[14:15], s[4:5]
	s_xor_b64 s[4:5], exec, s[14:15]
; %bb.27:
                                        ; implicit-def: $vgpr21
                                        ; implicit-def: $vgpr20
; %bb.28:
	s_or_saveexec_b64 s[4:5], s[4:5]
                                        ; implicit-def: $vgpr10
                                        ; implicit-def: $vgpr48
	s_xor_b64 exec, exec, s[4:5]
	s_cbranch_execz .LBB0_30
; %bb.29:
	ds_read2st64_b64 v[2:5], v20 offset0:10 offset1:16
	ds_read2st64_b64 v[6:9], v20 offset0:22 offset1:28
	ds_read2st64_b64 v[10:13], v20 offset0:34 offset1:40
	ds_read_b64 v[46:47], v21
	ds_read_b64 v[48:49], v20 offset:23552
	s_waitcnt lgkmcnt(4)
	v_mov_b32_e32 v44, v4
	s_waitcnt lgkmcnt(3)
	v_mov_b32_e32 v45, v7
.LBB0_30:
	s_or_b64 exec, exec, s[4:5]
	v_mul_lo_u16_e32 v4, 11, v1
	v_lshrrev_b16_e32 v7, 8, v4
	v_mul_lo_u16_e32 v4, 24, v7
	s_load_dwordx2 s[4:5], s[0:1], 0x8
	v_sub_u16_e32 v4, v1, v4
	v_and_b32_e32 v4, 0xff, v4
	v_mul_u32_u24_e32 v18, 7, v4
	v_lshlrev_b32_e32 v105, 3, v18
	v_mul_lo_u32 v18, v38, v4
	v_mov_b32_e32 v43, 3
	v_add_u32_e32 v21, 24, v4
	v_lshlrev_b32_sdwa v19, v43, v18 dst_sel:DWORD dst_unused:UNUSED_PAD src0_sel:DWORD src1_sel:BYTE_0
	v_lshlrev_b32_sdwa v20, v43, v18 dst_sel:DWORD dst_unused:UNUSED_PAD src0_sel:DWORD src1_sel:BYTE_1
	v_bfe_u32 v18, v18, 16, 8
	v_mov_b32_e32 v104, 0x1000
	v_mul_lo_u32 v21, v38, v21
	v_lshl_or_b32 v18, v18, 3, v104
	v_lshlrev_b32_sdwa v26, v43, v21 dst_sel:DWORD dst_unused:UNUSED_PAD src0_sel:DWORD src1_sel:BYTE_0
	s_waitcnt lgkmcnt(0)
	global_load_dwordx2 v[74:75], v19, s[4:5]
	global_load_dwordx2 v[78:79], v20, s[4:5] offset:2048
	global_load_dwordx2 v[72:73], v18, s[4:5]
	global_load_dwordx2 v[70:71], v26, s[4:5]
	v_bfe_u32 v19, v21, 16, 8
	v_add_u32_e32 v20, 48, v4
	v_lshlrev_b32_sdwa v18, v43, v21 dst_sel:DWORD dst_unused:UNUSED_PAD src0_sel:DWORD src1_sel:BYTE_1
	v_lshl_or_b32 v19, v19, 3, v104
	v_mul_lo_u32 v20, v38, v20
	v_lshlrev_b32_sdwa v21, v43, v20 dst_sel:DWORD dst_unused:UNUSED_PAD src0_sel:DWORD src1_sel:BYTE_0
	v_lshlrev_b32_sdwa v26, v43, v20 dst_sel:DWORD dst_unused:UNUSED_PAD src0_sel:DWORD src1_sel:BYTE_1
	global_load_dwordx2 v[86:87], v18, s[4:5] offset:2048
	global_load_dwordx2 v[82:83], v19, s[4:5]
	global_load_dwordx2 v[76:77], v21, s[4:5]
	global_load_dwordx2 v[80:81], v26, s[4:5] offset:2048
	v_add_u32_e32 v19, 0x48, v4
	v_bfe_u32 v18, v20, 16, 8
	v_mul_lo_u32 v19, v38, v19
	v_lshl_or_b32 v18, v18, 3, v104
	v_lshlrev_b32_sdwa v20, v43, v19 dst_sel:DWORD dst_unused:UNUSED_PAD src0_sel:DWORD src1_sel:BYTE_0
	v_lshlrev_b32_sdwa v21, v43, v19 dst_sel:DWORD dst_unused:UNUSED_PAD src0_sel:DWORD src1_sel:BYTE_1
	v_bfe_u32 v19, v19, 16, 8
	v_lshl_or_b32 v19, v19, 3, v104
	global_load_dwordx2 v[94:95], v18, s[4:5]
	global_load_dwordx2 v[88:89], v20, s[4:5]
	global_load_dwordx2 v[90:91], v21, s[4:5] offset:2048
	global_load_dwordx2 v[84:85], v19, s[4:5]
	v_or_b32_e32 v18, 0x60, v4
	v_mul_lo_u32 v18, v38, v18
	v_add_u32_e32 v21, 0x78, v4
	v_lshlrev_b32_sdwa v19, v43, v18 dst_sel:DWORD dst_unused:UNUSED_PAD src0_sel:DWORD src1_sel:BYTE_0
	v_lshlrev_b32_sdwa v20, v43, v18 dst_sel:DWORD dst_unused:UNUSED_PAD src0_sel:DWORD src1_sel:BYTE_1
	v_bfe_u32 v18, v18, 16, 8
	v_mul_lo_u32 v21, v38, v21
	v_lshl_or_b32 v18, v18, 3, v104
	v_lshlrev_b32_sdwa v26, v43, v21 dst_sel:DWORD dst_unused:UNUSED_PAD src0_sel:DWORD src1_sel:BYTE_0
	global_load_dwordx2 v[98:99], v19, s[4:5]
	global_load_dwordx2 v[100:101], v20, s[4:5] offset:2048
	global_load_dwordx2 v[96:97], v18, s[4:5]
	global_load_dwordx2 v[50:51], v26, s[4:5]
	v_add_u32_e32 v20, 0x90, v4
	v_lshlrev_b32_sdwa v18, v43, v21 dst_sel:DWORD dst_unused:UNUSED_PAD src0_sel:DWORD src1_sel:BYTE_1
	v_bfe_u32 v19, v21, 16, 8
	v_mul_lo_u32 v20, v38, v20
	v_add_u32_e32 v4, 0xa8, v4
	v_lshl_or_b32 v19, v19, 3, v104
	v_lshlrev_b32_sdwa v21, v43, v20 dst_sel:DWORD dst_unused:UNUSED_PAD src0_sel:DWORD src1_sel:BYTE_0
	v_lshlrev_b32_sdwa v26, v43, v20 dst_sel:DWORD dst_unused:UNUSED_PAD src0_sel:DWORD src1_sel:BYTE_1
	global_load_dwordx2 v[66:67], v18, s[4:5] offset:2048
	global_load_dwordx2 v[62:63], v19, s[4:5]
	global_load_dwordx2 v[52:53], v21, s[4:5]
	global_load_dwordx2 v[56:57], v26, s[4:5] offset:2048
	v_bfe_u32 v18, v20, 16, 8
	v_mul_lo_u32 v4, v38, v4
	v_lshl_or_b32 v106, v18, 3, v104
	v_lshlrev_b32_sdwa v107, v43, v4 dst_sel:DWORD dst_unused:UNUSED_PAD src0_sel:DWORD src1_sel:BYTE_0
	v_lshlrev_b32_sdwa v108, v43, v4 dst_sel:DWORD dst_unused:UNUSED_PAD src0_sel:DWORD src1_sel:BYTE_1
	v_bfe_u32 v4, v4, 16, 8
	v_lshl_or_b32 v4, v4, 3, v104
	global_load_dwordx2 v[64:65], v106, s[4:5]
	global_load_dwordx2 v[58:59], v107, s[4:5]
	global_load_dwordx2 v[60:61], v108, s[4:5] offset:2048
	global_load_dwordx2 v[54:55], v4, s[4:5]
	global_load_dwordx2 v[68:69], v105, s[6:7] offset:224
	global_load_dwordx4 v[18:21], v105, s[6:7] offset:208
	global_load_dwordx4 v[26:29], v105, s[6:7] offset:192
	;; [unrolled: 1-line block ×3, first 2 shown]
	v_add_u32_e32 v4, v40, v42
	s_and_saveexec_b64 s[0:1], s[12:13]
	s_cbranch_execz .LBB0_32
; %bb.31:
	v_add_u32_e32 v158, 0xa8, v41
	v_or_b32_e32 v159, 0x90, v41
	v_mul_lo_u32 v40, v38, v158
	v_mul_lo_u32 v106, v38, v159
	v_lshlrev_b32_sdwa v42, v43, v40 dst_sel:DWORD dst_unused:UNUSED_PAD src0_sel:DWORD src1_sel:BYTE_0
	v_lshlrev_b32_sdwa v107, v43, v106 dst_sel:DWORD dst_unused:UNUSED_PAD src0_sel:DWORD src1_sel:BYTE_0
	v_lshlrev_b32_sdwa v105, v43, v40 dst_sel:DWORD dst_unused:UNUSED_PAD src0_sel:DWORD src1_sel:BYTE_1
	v_lshlrev_b32_sdwa v108, v43, v106 dst_sel:DWORD dst_unused:UNUSED_PAD src0_sel:DWORD src1_sel:BYTE_1
	global_load_dwordx2 v[112:113], v107, s[4:5]
	global_load_dwordx2 v[114:115], v108, s[4:5] offset:2048
	global_load_dwordx2 v[116:117], v42, s[4:5]
	global_load_dwordx2 v[118:119], v105, s[4:5] offset:2048
	v_bfe_u32 v40, v40, 16, 8
	v_bfe_u32 v42, v106, 16, 8
	v_lshl_or_b32 v40, v40, 3, v104
	v_lshl_or_b32 v42, v42, 3, v104
	v_add_u32_e32 v160, 0x78, v41
	global_load_dwordx2 v[120:121], v42, s[4:5]
	global_load_dwordx2 v[122:123], v40, s[4:5]
	v_mul_lo_u32 v40, v38, v160
	v_lshlrev_b32_sdwa v105, v43, v40 dst_sel:DWORD dst_unused:UNUSED_PAD src0_sel:DWORD src1_sel:BYTE_0
	v_bfe_u32 v42, v40, 16, 8
	global_load_dwordx2 v[124:125], v105, s[4:5]
	v_lshlrev_b32_sdwa v40, v43, v40 dst_sel:DWORD dst_unused:UNUSED_PAD src0_sel:DWORD src1_sel:BYTE_1
	v_or_b32_e32 v161, 0x60, v41
	v_lshl_or_b32 v42, v42, 3, v104
	global_load_dwordx2 v[126:127], v40, s[4:5] offset:2048
	global_load_dwordx2 v[128:129], v42, s[4:5]
	v_mul_lo_u32 v40, v38, v161
	v_lshlrev_b32_sdwa v105, v43, v40 dst_sel:DWORD dst_unused:UNUSED_PAD src0_sel:DWORD src1_sel:BYTE_0
	v_bfe_u32 v42, v40, 16, 8
	v_lshlrev_b32_sdwa v40, v43, v40 dst_sel:DWORD dst_unused:UNUSED_PAD src0_sel:DWORD src1_sel:BYTE_1
	global_load_dwordx2 v[130:131], v105, s[4:5]
	global_load_dwordx2 v[132:133], v40, s[4:5] offset:2048
	v_lshl_or_b32 v40, v42, 3, v104
	global_load_dwordx2 v[134:135], v40, s[4:5]
	v_add_u32_e32 v162, 0x48, v41
	v_mul_lo_u32 v40, v38, v162
	v_lshlrev_b32_sdwa v42, v43, v40 dst_sel:DWORD dst_unused:UNUSED_PAD src0_sel:DWORD src1_sel:BYTE_0
	v_lshlrev_b32_sdwa v105, v43, v40 dst_sel:DWORD dst_unused:UNUSED_PAD src0_sel:DWORD src1_sel:BYTE_1
	v_bfe_u32 v40, v40, 16, 8
	v_lshl_or_b32 v40, v40, 3, v104
	global_load_dwordx2 v[136:137], v42, s[4:5]
	global_load_dwordx2 v[138:139], v105, s[4:5] offset:2048
	global_load_dwordx2 v[140:141], v40, s[4:5]
	v_mul_lo_u32 v40, v38, v39
	v_bfe_u32 v42, v40, 16, 8
	v_lshlrev_b32_sdwa v105, v43, v40 dst_sel:DWORD dst_unused:UNUSED_PAD src0_sel:DWORD src1_sel:BYTE_0
	v_lshlrev_b32_sdwa v40, v43, v40 dst_sel:DWORD dst_unused:UNUSED_PAD src0_sel:DWORD src1_sel:BYTE_1
	global_load_dwordx2 v[142:143], v105, s[4:5]
	global_load_dwordx2 v[144:145], v40, s[4:5] offset:2048
	v_lshl_or_b32 v40, v42, 3, v104
	v_add_u32_e32 v163, 24, v41
	global_load_dwordx2 v[146:147], v40, s[4:5]
	v_mul_lo_u32 v40, v38, v163
	v_lshlrev_b32_sdwa v42, v43, v40 dst_sel:DWORD dst_unused:UNUSED_PAD src0_sel:DWORD src1_sel:BYTE_0
	global_load_dwordx2 v[148:149], v42, s[4:5]
	v_lshlrev_b32_sdwa v42, v43, v40 dst_sel:DWORD dst_unused:UNUSED_PAD src0_sel:DWORD src1_sel:BYTE_1
	v_bfe_u32 v40, v40, 16, 8
	v_lshl_or_b32 v40, v40, 3, v104
	v_mul_lo_u32 v38, v38, v41
	global_load_dwordx2 v[150:151], v42, s[4:5] offset:2048
	global_load_dwordx2 v[152:153], v40, s[4:5]
	v_lshlrev_b32_sdwa v40, v43, v38 dst_sel:DWORD dst_unused:UNUSED_PAD src0_sel:DWORD src1_sel:BYTE_0
	v_lshlrev_b32_sdwa v105, v43, v38 dst_sel:DWORD dst_unused:UNUSED_PAD src0_sel:DWORD src1_sel:BYTE_1
	v_bfe_u32 v38, v38, 16, 8
	v_lshl_or_b32 v38, v38, 3, v104
	global_load_dwordx2 v[42:43], v40, s[4:5]
	global_load_dwordx2 v[154:155], v105, s[4:5] offset:2048
	global_load_dwordx2 v[156:157], v38, s[4:5]
	v_mul_u32_u24_e32 v38, 7, v41
	v_lshlrev_b32_e32 v164, 3, v38
	global_load_dwordx4 v[104:107], v164, s[6:7] offset:192
	global_load_dwordx4 v[108:111], v164, s[6:7] offset:176
	s_waitcnt vmcnt(24)
	v_mul_f32_e32 v38, v113, v115
	v_mul_f32_e32 v40, v112, v115
	s_waitcnt vmcnt(22)
	v_mul_f32_e32 v115, v117, v119
	v_mul_f32_e32 v119, v116, v119
	v_fmac_f32_e32 v40, v113, v114
	v_fmac_f32_e32 v119, v117, v118
	v_fma_f32 v38, v112, v114, -v38
	v_fma_f32 v112, v116, v118, -v115
	s_waitcnt vmcnt(21)
	v_mul_f32_e32 v113, v40, v121
	s_waitcnt vmcnt(20)
	v_mul_f32_e32 v114, v119, v123
	v_mul_f32_e32 v165, v112, v123
	v_fma_f32 v166, v120, v38, -v113
	v_fma_f32 v167, v122, v112, -v114
	v_mul_f32_e32 v168, v38, v121
	global_load_dwordx4 v[112:115], v164, s[6:7] offset:208
	v_fmac_f32_e32 v168, v120, v40
	s_waitcnt vmcnt(19)
	v_mul_f32_e32 v40, v124, v127
	v_mul_f32_e32 v38, v125, v127
	v_fmac_f32_e32 v40, v125, v126
	v_fma_f32 v38, v124, v126, -v38
	s_waitcnt vmcnt(18)
	v_mul_f32_e32 v116, v40, v129
	v_fma_f32 v169, v128, v38, -v116
	s_waitcnt vmcnt(16)
	v_pk_mul_f32 v[116:117], v[130:131], v[132:133] op_sel:[1,0] op_sel_hi:[0,1]
	v_mul_f32_e32 v170, v38, v129
	v_mul_f32_e32 v38, v130, v132
	v_add_f32_e32 v116, v116, v117
	v_fmac_f32_e32 v170, v128, v40
	v_fma_f32 v40, -v131, v133, v38
	s_waitcnt vmcnt(15)
	v_mul_f32_e32 v38, v116, v135
	v_fma_f32 v38, v134, v40, -v38
	v_mul_f32_e32 v40, v40, v135
	v_fmac_f32_e32 v40, v134, v116
	global_load_dwordx2 v[116:117], v164, s[6:7] offset:224
	v_fmac_f32_e32 v165, v122, v119
	s_waitcnt vmcnt(14)
	v_mul_f32_e32 v118, v137, v139
	v_mul_f32_e32 v119, v136, v139
	v_fma_f32 v118, v136, v138, -v118
	v_fmac_f32_e32 v119, v137, v138
	s_waitcnt vmcnt(13)
	v_mul_f32_e32 v120, v119, v141
	v_mul_f32_e32 v133, v118, v141
	v_fma_f32 v132, v140, v118, -v120
	;; [unrolled: 5-line block ×5, first 2 shown]
	v_fmac_f32_e32 v119, v149, v150
	s_waitcnt vmcnt(7)
	v_mul_f32_e32 v120, v119, v153
	v_mul_f32_e32 v137, v118, v153
	s_waitcnt vmcnt(3)
	v_pk_mul_f32 v[128:129], v[106:107], v[24:25] op_sel:[0,1]
	v_fma_f32 v136, v152, v118, -v120
	v_pk_fma_f32 v[130:131], v[106:107], v[24:25], v[128:129] op_sel:[0,0,1] op_sel_hi:[1,1,0]
	v_pk_fma_f32 v[24:25], v[106:107], v[24:25], v[128:129] op_sel:[0,0,1] op_sel_hi:[1,0,0] neg_lo:[1,0,0] neg_hi:[1,0,0]
	s_waitcnt vmcnt(2)
	v_pk_mul_f32 v[106:107], v[110:111], v[102:103] op_sel:[0,1]
	v_fmac_f32_e32 v137, v152, v119
	v_pk_fma_f32 v[128:129], v[110:111], v[102:103], v[106:107] op_sel:[0,0,1] op_sel_hi:[1,1,0]
	v_pk_fma_f32 v[102:103], v[110:111], v[102:103], v[106:107] op_sel:[0,0,1] op_sel_hi:[1,0,0] neg_lo:[1,0,0] neg_hi:[1,0,0]
	v_mad_u64_u32 v[118:119], s[4:5], s10, v41, v[4:5]
	v_mov_b32_e32 v129, v103
	v_mul_f32_e32 v41, v43, v155
	v_fma_f32 v41, v42, v154, -v41
	v_mul_f32_e32 v42, v42, v155
	v_fmac_f32_e32 v42, v154, v43
	v_mov_b32_e32 v131, v25
	v_mov_b32_e32 v119, 0
	v_mul_f32_e32 v43, v157, v42
	v_pk_add_f32 v[24:25], v[14:15], v[130:131] neg_lo:[0,1] neg_hi:[0,1]
	v_lshl_add_u64 v[120:121], v[118:119], 3, s[8:9]
	v_fma_f32 v118, v156, v41, -v43
	v_mul_f32_e32 v138, v157, v41
	v_mad_u64_u32 v[122:123], s[4:5], s10, v39, v[4:5]
	v_pk_fma_f32 v[14:15], v[14:15], 2.0, v[24:25] op_sel_hi:[1,0,1] neg_lo:[0,0,1] neg_hi:[0,0,1]
	v_fmac_f32_e32 v138, v156, v42
	v_mad_u64_u32 v[42:43], s[4:5], s10, v163, v[4:5]
	v_mad_u64_u32 v[124:125], s[4:5], s10, v162, v[4:5]
	v_mov_b32_e32 v43, v119
	v_mov_b32_e32 v123, v119
	;; [unrolled: 1-line block ×3, first 2 shown]
	v_lshl_add_u64 v[42:43], v[42:43], 3, s[8:9]
	v_lshl_add_u64 v[122:123], v[122:123], 3, s[8:9]
	;; [unrolled: 1-line block ×3, first 2 shown]
	v_mad_u64_u32 v[126:127], s[4:5], s10, v161, v[4:5]
	s_waitcnt vmcnt(1)
	v_pk_mul_f32 v[102:103], v[114:115], v[32:33] op_sel:[0,1]
	v_mov_b32_e32 v127, v119
	v_pk_fma_f32 v[106:107], v[114:115], v[32:33], v[102:103] op_sel:[0,0,1] op_sel_hi:[1,1,0]
	v_pk_fma_f32 v[32:33], v[114:115], v[32:33], v[102:103] op_sel:[0,0,1] op_sel_hi:[1,0,0] neg_lo:[1,0,0] neg_hi:[1,0,0]
	v_pk_mul_f32 v[102:103], v[108:109], v[16:17] op_sel:[0,1]
	v_mov_b32_e32 v107, v33
	v_pk_add_f32 v[32:33], v[128:129], v[106:107] neg_lo:[0,1] neg_hi:[0,1]
	v_pk_fma_f32 v[106:107], v[108:109], v[16:17], v[102:103] op_sel:[0,0,1] op_sel_hi:[1,1,0]
	v_pk_fma_f32 v[16:17], v[108:109], v[16:17], v[102:103] op_sel:[0,0,1] op_sel_hi:[1,0,0] neg_lo:[1,0,0] neg_hi:[1,0,0]
	v_sub_f32_e32 v39, v25, v32
	v_mov_b32_e32 v107, v17
	v_pk_mul_f32 v[16:17], v[112:113], v[30:31] op_sel:[0,1]
	v_add_f32_e32 v108, v24, v33
	v_pk_fma_f32 v[102:103], v[112:113], v[30:31], v[16:17] op_sel:[0,0,1] op_sel_hi:[1,1,0]
	v_pk_fma_f32 v[16:17], v[112:113], v[30:31], v[16:17] op_sel:[0,0,1] op_sel_hi:[1,0,0] neg_lo:[1,0,0] neg_hi:[1,0,0]
	v_pk_mul_f32 v[30:31], v[104:105], v[22:23] op_sel:[0,1]
	v_mov_b32_e32 v103, v17
	v_pk_add_f32 v[16:17], v[106:107], v[102:103] neg_lo:[0,1] neg_hi:[0,1]
	v_pk_fma_f32 v[102:103], v[104:105], v[22:23], v[30:31] op_sel:[0,0,1] op_sel_hi:[1,1,0]
	v_pk_fma_f32 v[22:23], v[104:105], v[22:23], v[30:31] op_sel:[0,0,1] op_sel_hi:[1,0,0] neg_lo:[1,0,0] neg_hi:[1,0,0]
	v_pk_fma_f32 v[32:33], v[128:129], 2.0, v[32:33] op_sel_hi:[1,0,1] neg_lo:[0,0,1] neg_hi:[0,0,1]
	v_mov_b32_e32 v103, v23
	s_waitcnt vmcnt(0)
	v_pk_mul_f32 v[22:23], v[116:117], v[92:93] op_sel:[0,1]
	v_pk_add_f32 v[32:33], v[14:15], v[32:33] neg_lo:[0,1] neg_hi:[0,1]
	v_pk_fma_f32 v[30:31], v[116:117], v[92:93], v[22:23] op_sel:[0,0,1] op_sel_hi:[1,1,0]
	v_pk_fma_f32 v[22:23], v[116:117], v[92:93], v[22:23] op_sel:[0,0,1] op_sel_hi:[1,0,0] neg_lo:[1,0,0] neg_hi:[1,0,0]
	v_pk_fma_f32 v[92:93], v[106:107], 2.0, v[16:17] op_sel_hi:[1,0,1] neg_lo:[0,0,1] neg_hi:[0,0,1]
	v_mov_b32_e32 v31, v23
	v_pk_add_f32 v[22:23], v[102:103], v[30:31] neg_lo:[0,1] neg_hi:[0,1]
	v_pk_fma_f32 v[14:15], v[14:15], 2.0, v[32:33] op_sel_hi:[1,0,1] neg_lo:[0,0,1] neg_hi:[0,0,1]
	v_sub_f32_e32 v41, v17, v22
	v_add_f32_e32 v105, v16, v23
	v_pk_fma_f32 v[22:23], v[102:103], 2.0, v[22:23] op_sel_hi:[1,0,1] neg_lo:[0,0,1] neg_hi:[0,0,1]
	v_fmamk_f32 v104, v41, 0x3f3504f3, v39
	v_pk_add_f32 v[22:23], v[92:93], v[22:23] neg_lo:[0,1] neg_hi:[0,1]
	v_fmac_f32_e32 v104, 0xbf3504f3, v105
	v_sub_f32_e32 v106, v33, v22
	v_add_f32_e32 v107, v32, v23
	v_pk_fma_f32 v[22:23], v[92:93], 2.0, v[22:23] op_sel_hi:[1,0,1] neg_lo:[0,0,1] neg_hi:[0,0,1]
	v_fmamk_f32 v109, v105, 0x3f3504f3, v108
	v_pk_add_f32 v[22:23], v[14:15], v[22:23] neg_lo:[0,1] neg_hi:[0,1]
	v_fma_f32 v110, v25, 2.0, -v39
	v_fma_f32 v16, v16, 2.0, -v105
	;; [unrolled: 1-line block ×3, first 2 shown]
	v_pk_mul_f32 v[24:25], v[22:23], v[40:41] op_sel_hi:[1,0]
	v_fmac_f32_e32 v109, 0x3f3504f3, v41
	v_fma_f32 v17, v17, 2.0, -v41
	v_pk_fma_f32 v[40:41], v[22:23], v[38:39], v[24:25] op_sel:[0,0,1] op_sel_hi:[1,1,0]
	v_pk_fma_f32 v[24:25], v[22:23], v[38:39], v[24:25] op_sel:[0,0,1] op_sel_hi:[1,0,0] neg_lo:[0,0,1] neg_hi:[0,0,1]
	v_fma_f32 v41, v108, 2.0, -v109
	v_fma_f32 v24, v39, 2.0, -v104
	v_mul_f32_e32 v38, v41, v133
	v_fma_f32 v39, v24, v132, -v38
	v_mul_f32_e32 v38, v24, v133
	v_fmac_f32_e32 v38, v41, v132
	v_fma_f32 v41, v32, 2.0, -v107
	v_fmamk_f32 v112, v16, 0xbf3504f3, v105
	v_fma_f32 v24, v33, 2.0, -v106
	v_mul_f32_e32 v32, v41, v135
	v_fmamk_f32 v111, v17, 0xbf3504f3, v110
	v_fmac_f32_e32 v112, 0x3f3504f3, v17
	v_fma_f32 v33, v24, v134, -v32
	v_mul_f32_e32 v32, v24, v135
	v_fma_f32 v22, v14, 2.0, -v22
	v_fmac_f32_e32 v111, 0xbf3504f3, v16
	v_fmac_f32_e32 v32, v41, v134
	v_fma_f32 v41, v105, 2.0, -v112
	v_fma_f32 v23, v15, 2.0, -v23
	v_mul_f32_e32 v14, v22, v138
	v_fma_f32 v24, v110, 2.0, -v111
	v_mul_f32_e32 v92, v41, v137
	v_fma_f32 v15, v23, v118, -v14
	v_mul_f32_e32 v14, v23, v138
	v_fma_f32 v93, v24, v136, -v92
	v_mul_f32_e32 v92, v24, v137
	v_fmac_f32_e32 v14, v22, v118
	v_mul_f32_e32 v16, v112, v170
	v_fmac_f32_e32 v92, v41, v136
	global_store_dwordx2 v[120:121], v[14:15], off
	global_store_dwordx2 v[42:43], v[92:93], off
	;; [unrolled: 1-line block ×4, first 2 shown]
	v_mad_u64_u32 v[14:15], s[4:5], s10, v160, v[4:5]
	v_fma_f32 v17, v111, v169, -v16
	v_mul_f32_e32 v16, v111, v170
	v_mov_b32_e32 v15, v119
	v_lshl_add_u64 v[126:127], v[126:127], 3, s[8:9]
	v_fmac_f32_e32 v16, v112, v169
	v_mov_b32_e32 v41, v25
	v_lshl_add_u64 v[14:15], v[14:15], 3, s[8:9]
	v_mul_f32_e32 v102, v107, v168
	global_store_dwordx2 v[126:127], v[40:41], off
	global_store_dwordx2 v[14:15], v[16:17], off
	v_mad_u64_u32 v[14:15], s[4:5], s10, v159, v[4:5]
	v_fma_f32 v103, v106, v166, -v102
	v_mul_f32_e32 v102, v106, v168
	v_mov_b32_e32 v15, v119
	v_fmac_f32_e32 v102, v107, v166
	v_lshl_add_u64 v[14:15], v[14:15], 3, s[8:9]
	v_mul_f32_e32 v30, v109, v165
	global_store_dwordx2 v[14:15], v[102:103], off
	v_mad_u64_u32 v[14:15], s[4:5], s10, v158, v[4:5]
	v_fma_f32 v31, v104, v167, -v30
	v_mul_f32_e32 v30, v104, v165
	v_mov_b32_e32 v15, v119
	v_fmac_f32_e32 v30, v109, v167
	v_lshl_add_u64 v[14:15], v[14:15], 3, s[8:9]
	global_store_dwordx2 v[14:15], v[30:31], off
.LBB0_32:
	s_or_b64 exec, exec, s[0:1]
	s_movk_i32 s4, 0x80
	s_movk_i32 s0, 0x7f
	v_cmp_lt_u32_e64 s[0:1], s0, v0
	v_cmp_gt_u32_e64 s[4:5], s4, v0
	v_cndmask_b32_e64 v14, 0, 1, s[2:3]
	s_or_b64 vcc, s[0:1], vcc
	v_cndmask_b32_e64 v0, 0, 1, s[4:5]
	v_cndmask_b32_e32 v0, v14, v0, vcc
	v_and_b32_e32 v0, 1, v0
	v_cmp_eq_u32_e32 vcc, 1, v0
	s_and_saveexec_b64 s[0:1], vcc
	s_cbranch_execz .LBB0_34
; %bb.33:
	s_waitcnt vmcnt(26)
	v_mul_f32_e32 v0, v75, v79
	v_mul_f32_e32 v14, v74, v79
	v_fma_f32 v0, v74, v78, -v0
	v_fmac_f32_e32 v14, v75, v78
	s_waitcnt vmcnt(25)
	v_mul_f32_e32 v15, v14, v73
	v_mul_f32_e32 v31, v0, v73
	v_fma_f32 v30, v72, v0, -v15
	v_fmac_f32_e32 v31, v72, v14
	;; [unrolled: 5-line block ×8, first 2 shown]
	s_waitcnt vmcnt(14)
	v_pk_mul_f32 v[14:15], v[98:99], v[100:101] op_sel:[1,0] op_sel_hi:[0,1]
	v_mul_f32_e32 v0, v98, v100
	v_add_f32_e32 v15, v14, v15
	v_fma_f32 v16, -v99, v101, v0
	s_waitcnt vmcnt(13)
	v_mul_f32_e32 v0, v15, v97
	v_fma_f32 v0, v96, v16, -v0
	v_mul_f32_e32 v14, v16, v97
	v_mov_b32_e32 v16, v3
	s_waitcnt vmcnt(0)
	v_pk_mul_f32 v[16:17], v[16:17], v[34:35] op_sel_hi:[0,1]
	v_pk_fma_f32 v[22:23], v[2:3], v[34:35], v[16:17] op_sel:[0,0,1] op_sel_hi:[1,1,0]
	v_pk_fma_f32 v[2:3], v[2:3], v[34:35], v[16:17] op_sel:[0,0,1] op_sel_hi:[0,1,0] neg_lo:[1,0,0] neg_hi:[1,0,0]
	v_mov_b32_e32 v2, v5
	v_mov_b32_e32 v23, v3
	v_pk_mul_f32 v[2:3], v[2:3], v[36:37] op_sel_hi:[0,1]
	v_pk_fma_f32 v[16:17], v[44:45], v[36:37], v[2:3] op_sel:[0,0,1] op_sel_hi:[1,1,0]
	v_pk_fma_f32 v[2:3], v[44:45], v[36:37], v[2:3] op_sel:[0,0,1] op_sel_hi:[0,1,0] neg_lo:[1,0,0] neg_hi:[1,0,0]
	v_mov_b32_e32 v17, v3
	v_pk_mul_f32 v[2:3], v[44:45], v[26:27] op_sel:[1,0]
	v_fmac_f32_e32 v14, v96, v15
	v_pk_fma_f32 v[24:25], v[6:7], v[26:27], v[2:3] op_sel:[0,0,1] op_sel_hi:[1,1,0]
	v_pk_fma_f32 v[2:3], v[6:7], v[26:27], v[2:3] op_sel:[0,0,1] op_sel_hi:[0,1,0] neg_lo:[1,0,0] neg_hi:[1,0,0]
	v_mov_b32_e32 v2, v9
	v_mov_b32_e32 v25, v3
	v_pk_mul_f32 v[2:3], v[2:3], v[28:29] op_sel_hi:[0,1]
	v_pk_fma_f32 v[26:27], v[8:9], v[28:29], v[2:3] op_sel:[0,0,1] op_sel_hi:[1,1,0]
	v_pk_fma_f32 v[2:3], v[8:9], v[28:29], v[2:3] op_sel:[0,0,1] op_sel_hi:[0,1,0] neg_lo:[1,0,0] neg_hi:[1,0,0]
	v_mov_b32_e32 v2, v11
	v_mov_b32_e32 v27, v3
	v_pk_mul_f32 v[2:3], v[2:3], v[18:19] op_sel_hi:[0,1]
	v_pk_fma_f32 v[8:9], v[10:11], v[18:19], v[2:3] op_sel:[0,0,1] op_sel_hi:[1,1,0]
	v_pk_fma_f32 v[2:3], v[10:11], v[18:19], v[2:3] op_sel:[0,0,1] op_sel_hi:[0,1,0] neg_lo:[1,0,0] neg_hi:[1,0,0]
	v_mov_b32_e32 v2, v13
	v_mov_b32_e32 v9, v3
	v_pk_mul_f32 v[2:3], v[2:3], v[20:21] op_sel_hi:[0,1]
	v_pk_fma_f32 v[10:11], v[12:13], v[20:21], v[2:3] op_sel:[0,0,1] op_sel_hi:[1,1,0]
	v_pk_fma_f32 v[2:3], v[12:13], v[20:21], v[2:3] op_sel:[0,0,1] op_sel_hi:[0,1,0] neg_lo:[1,0,0] neg_hi:[1,0,0]
	v_mov_b32_e32 v2, v49
	v_mov_b32_e32 v11, v3
	v_pk_mul_f32 v[2:3], v[2:3], v[68:69] op_sel_hi:[0,1]
	v_pk_fma_f32 v[12:13], v[48:49], v[68:69], v[2:3] op_sel:[0,0,1] op_sel_hi:[1,1,0]
	v_pk_fma_f32 v[2:3], v[48:49], v[68:69], v[2:3] op_sel:[0,0,1] op_sel_hi:[0,1,0] neg_lo:[1,0,0] neg_hi:[1,0,0]
	v_mov_b32_e32 v13, v3
	v_pk_add_f32 v[2:3], v[46:47], v[26:27] neg_lo:[0,1] neg_hi:[0,1]
	v_pk_add_f32 v[10:11], v[16:17], v[10:11] neg_lo:[0,1] neg_hi:[0,1]
	;; [unrolled: 1-line block ×4, first 2 shown]
	v_pk_fma_f32 v[20:21], v[22:23], 2.0, v[8:9] op_sel_hi:[1,0,1] neg_lo:[0,0,1] neg_hi:[0,0,1]
	v_pk_fma_f32 v[22:23], v[24:25], 2.0, v[12:13] op_sel_hi:[1,0,1] neg_lo:[0,0,1] neg_hi:[0,0,1]
	v_add_f32_e32 v5, v2, v11
	v_sub_f32_e32 v6, v3, v10
	v_pk_fma_f32 v[18:19], v[46:47], 2.0, v[2:3] op_sel_hi:[1,0,1] neg_lo:[0,0,1] neg_hi:[0,0,1]
	v_pk_fma_f32 v[16:17], v[16:17], 2.0, v[10:11] op_sel_hi:[1,0,1] neg_lo:[0,0,1] neg_hi:[0,0,1]
	v_fma_f32 v15, v2, 2.0, -v5
	v_fma_f32 v24, v3, 2.0, -v6
	v_pk_add_f32 v[2:3], v[20:21], v[22:23] neg_lo:[0,1] neg_hi:[0,1]
	v_sub_f32_e32 v12, v9, v12
	v_pk_add_f32 v[16:17], v[18:19], v[16:17] neg_lo:[0,1] neg_hi:[0,1]
	v_pk_fma_f32 v[10:11], v[20:21], 2.0, v[2:3] op_sel_hi:[1,0,1] neg_lo:[0,0,1] neg_hi:[0,0,1]
	v_add_f32_e32 v13, v8, v13
	v_fma_f32 v21, v9, 2.0, -v12
	v_pk_fma_f32 v[18:19], v[18:19], 2.0, v[16:17] op_sel_hi:[1,0,1] neg_lo:[0,0,1] neg_hi:[0,0,1]
	v_fma_f32 v20, v8, 2.0, -v13
	v_fmamk_f32 v23, v21, 0xbf3504f3, v24
	v_pk_add_f32 v[8:9], v[18:19], v[10:11] neg_lo:[0,1] neg_hi:[0,1]
	v_fmac_f32_e32 v23, 0xbf3504f3, v20
	v_fma_f32 v10, v18, 2.0, -v8
	v_fmamk_f32 v22, v20, 0xbf3504f3, v15
	v_fma_f32 v18, v24, 2.0, -v23
	v_sub_f32_e32 v24, v17, v2
	v_fmamk_f32 v26, v12, 0x3f3504f3, v6
	v_fmac_f32_e32 v22, 0x3f3504f3, v21
	v_add_f32_e32 v21, v16, v3
	v_fma_f32 v17, v17, 2.0, -v24
	v_fmamk_f32 v25, v13, 0x3f3504f3, v5
	v_fmac_f32_e32 v26, 0xbf3504f3, v13
	v_fma_f32 v11, v19, 2.0, -v9
	v_fma_f32 v16, v16, 2.0, -v21
	v_fmac_f32_e32 v25, 0x3f3504f3, v12
	v_fma_f32 v6, v6, 2.0, -v26
	v_mul_f32_e32 v12, v17, v39
	v_fma_f32 v5, v5, 2.0, -v25
	v_mul_f32_e32 v2, v11, v31
	v_fmac_f32_e32 v12, v16, v38
	v_mul_f32_e32 v13, v16, v39
	v_mul_f32_e32 v16, v6, v41
	v_fma_f32 v15, v15, 2.0, -v22
	v_fmac_f32_e32 v2, v10, v30
	v_mul_f32_e32 v3, v10, v31
	v_mul_f32_e32 v10, v18, v33
	v_fmac_f32_e32 v16, v5, v40
	v_mul_f32_e32 v5, v5, v41
	v_fma_f32 v3, v11, v30, -v3
	v_fmac_f32_e32 v10, v15, v32
	v_mul_f32_e32 v11, v15, v33
	v_fma_f32 v13, v17, v38, -v13
	v_fma_f32 v17, v6, v40, -v5
	v_pk_mul_f32 v[14:15], v[8:9], v[14:15] op_sel_hi:[1,0]
	v_mul_f32_e32 v5, v50, v67
	v_fma_f32 v11, v18, v32, -v11
	v_pk_fma_f32 v[18:19], v[8:9], v[0:1], v[14:15] op_sel:[0,0,1] op_sel_hi:[1,1,0]
	v_pk_fma_f32 v[8:9], v[8:9], v[0:1], v[14:15] op_sel:[0,0,1] op_sel_hi:[1,0,0] neg_lo:[0,0,1] neg_hi:[0,0,1]
	v_mul_f32_e32 v0, v51, v67
	v_fmac_f32_e32 v5, v51, v66
	v_fma_f32 v0, v50, v66, -v0
	v_mul_f32_e32 v6, v5, v63
	v_fma_f32 v6, v62, v0, -v6
	v_mul_f32_e32 v0, v0, v63
	v_fmac_f32_e32 v0, v62, v5
	v_mul_f32_e32 v14, v23, v0
	v_mul_f32_e32 v0, v22, v0
	;; [unrolled: 1-line block ×3, first 2 shown]
	v_fma_f32 v15, v23, v6, -v0
	v_mul_f32_e32 v0, v53, v57
	v_fmac_f32_e32 v5, v53, v56
	v_fmac_f32_e32 v14, v22, v6
	v_fma_f32 v0, v52, v56, -v0
	v_mul_f32_e32 v6, v5, v65
	v_fma_f32 v6, v64, v0, -v6
	v_mul_f32_e32 v0, v0, v65
	v_fmac_f32_e32 v0, v64, v5
	v_mul_f32_e32 v20, v24, v0
	v_mul_f32_e32 v0, v21, v0
	;; [unrolled: 1-line block ×3, first 2 shown]
	v_fmac_f32_e32 v20, v21, v6
	v_fma_f32 v21, v24, v6, -v0
	v_mul_f32_e32 v0, v59, v61
	v_fmac_f32_e32 v5, v59, v60
	v_fma_f32 v0, v58, v60, -v0
	v_mul_f32_e32 v6, v5, v55
	v_fma_f32 v6, v54, v0, -v6
	v_mul_f32_e32 v0, v0, v55
	v_fmac_f32_e32 v0, v54, v5
	s_movk_i32 s0, 0xa8
	v_mul_f32_e32 v22, v26, v0
	v_mul_f32_e32 v0, v25, v0
	v_mad_u32_u24 v5, v7, s0, v1
	v_fma_f32 v23, v26, v6, -v0
	v_mad_u64_u32 v[0:1], s[0:1], s10, v5, v[4:5]
	v_mov_b32_e32 v1, 0
	v_fmac_f32_e32 v22, v25, v6
	v_lshl_add_u64 v[6:7], v[0:1], 3, s[8:9]
	v_add_u32_e32 v0, 24, v5
	global_store_dwordx2 v[6:7], v[2:3], off
	v_mad_u64_u32 v[2:3], s[0:1], s10, v0, v[4:5]
	v_mov_b32_e32 v3, v1
	v_lshl_add_u64 v[2:3], v[2:3], 3, s[8:9]
	v_add_u32_e32 v0, 48, v5
	global_store_dwordx2 v[2:3], v[10:11], off
	v_mad_u64_u32 v[2:3], s[0:1], s10, v0, v[4:5]
	v_mov_b32_e32 v3, v1
	;; [unrolled: 5-line block ×4, first 2 shown]
	v_lshl_add_u64 v[2:3], v[2:3], 3, s[8:9]
	v_mov_b32_e32 v19, v9
	v_add_u32_e32 v0, 0x78, v5
	global_store_dwordx2 v[2:3], v[18:19], off
	v_mad_u64_u32 v[2:3], s[0:1], s10, v0, v[4:5]
	v_mov_b32_e32 v3, v1
	v_lshl_add_u64 v[2:3], v[2:3], 3, s[8:9]
	v_add_u32_e32 v0, 0x90, v5
	global_store_dwordx2 v[2:3], v[14:15], off
	v_mad_u64_u32 v[2:3], s[0:1], s10, v0, v[4:5]
	v_mov_b32_e32 v3, v1
	v_lshl_add_u64 v[2:3], v[2:3], 3, s[8:9]
	;; [unrolled: 5-line block ×3, first 2 shown]
	global_store_dwordx2 v[0:1], v[22:23], off
.LBB0_34:
	s_endpgm
	.section	.rodata,"a",@progbits
	.p2align	6, 0x0
	.amdhsa_kernel fft_rtc_back_len192_factors_2_2_6_8_wgs_256_tpt_16_dim2_sp_ip_CI_sbcc_twdbase8_3step_dirReg_intrinsicReadWrite
		.amdhsa_group_segment_fixed_size 0
		.amdhsa_private_segment_fixed_size 0
		.amdhsa_kernarg_size 88
		.amdhsa_user_sgpr_count 2
		.amdhsa_user_sgpr_dispatch_ptr 0
		.amdhsa_user_sgpr_queue_ptr 0
		.amdhsa_user_sgpr_kernarg_segment_ptr 1
		.amdhsa_user_sgpr_dispatch_id 0
		.amdhsa_user_sgpr_kernarg_preload_length 0
		.amdhsa_user_sgpr_kernarg_preload_offset 0
		.amdhsa_user_sgpr_private_segment_size 0
		.amdhsa_uses_dynamic_stack 0
		.amdhsa_enable_private_segment 0
		.amdhsa_system_sgpr_workgroup_id_x 1
		.amdhsa_system_sgpr_workgroup_id_y 0
		.amdhsa_system_sgpr_workgroup_id_z 0
		.amdhsa_system_sgpr_workgroup_info 0
		.amdhsa_system_vgpr_workitem_id 0
		.amdhsa_next_free_vgpr 171
		.amdhsa_next_free_sgpr 18
		.amdhsa_accum_offset 172
		.amdhsa_reserve_vcc 1
		.amdhsa_float_round_mode_32 0
		.amdhsa_float_round_mode_16_64 0
		.amdhsa_float_denorm_mode_32 3
		.amdhsa_float_denorm_mode_16_64 3
		.amdhsa_dx10_clamp 1
		.amdhsa_ieee_mode 1
		.amdhsa_fp16_overflow 0
		.amdhsa_tg_split 0
		.amdhsa_exception_fp_ieee_invalid_op 0
		.amdhsa_exception_fp_denorm_src 0
		.amdhsa_exception_fp_ieee_div_zero 0
		.amdhsa_exception_fp_ieee_overflow 0
		.amdhsa_exception_fp_ieee_underflow 0
		.amdhsa_exception_fp_ieee_inexact 0
		.amdhsa_exception_int_div_zero 0
	.end_amdhsa_kernel
	.text
.Lfunc_end0:
	.size	fft_rtc_back_len192_factors_2_2_6_8_wgs_256_tpt_16_dim2_sp_ip_CI_sbcc_twdbase8_3step_dirReg_intrinsicReadWrite, .Lfunc_end0-fft_rtc_back_len192_factors_2_2_6_8_wgs_256_tpt_16_dim2_sp_ip_CI_sbcc_twdbase8_3step_dirReg_intrinsicReadWrite
                                        ; -- End function
	.section	.AMDGPU.csdata,"",@progbits
; Kernel info:
; codeLenInByte = 7412
; NumSgprs: 24
; NumVgprs: 171
; NumAgprs: 0
; TotalNumVgprs: 171
; ScratchSize: 0
; MemoryBound: 0
; FloatMode: 240
; IeeeMode: 1
; LDSByteSize: 0 bytes/workgroup (compile time only)
; SGPRBlocks: 2
; VGPRBlocks: 21
; NumSGPRsForWavesPerEU: 24
; NumVGPRsForWavesPerEU: 171
; AccumOffset: 172
; Occupancy: 2
; WaveLimiterHint : 1
; COMPUTE_PGM_RSRC2:SCRATCH_EN: 0
; COMPUTE_PGM_RSRC2:USER_SGPR: 2
; COMPUTE_PGM_RSRC2:TRAP_HANDLER: 0
; COMPUTE_PGM_RSRC2:TGID_X_EN: 1
; COMPUTE_PGM_RSRC2:TGID_Y_EN: 0
; COMPUTE_PGM_RSRC2:TGID_Z_EN: 0
; COMPUTE_PGM_RSRC2:TIDIG_COMP_CNT: 0
; COMPUTE_PGM_RSRC3_GFX90A:ACCUM_OFFSET: 42
; COMPUTE_PGM_RSRC3_GFX90A:TG_SPLIT: 0
	.text
	.p2alignl 6, 3212836864
	.fill 256, 4, 3212836864
	.type	__hip_cuid_90e2342fcfc62026,@object ; @__hip_cuid_90e2342fcfc62026
	.section	.bss,"aw",@nobits
	.globl	__hip_cuid_90e2342fcfc62026
__hip_cuid_90e2342fcfc62026:
	.byte	0                               ; 0x0
	.size	__hip_cuid_90e2342fcfc62026, 1

	.ident	"AMD clang version 19.0.0git (https://github.com/RadeonOpenCompute/llvm-project roc-6.4.0 25133 c7fe45cf4b819c5991fe208aaa96edf142730f1d)"
	.section	".note.GNU-stack","",@progbits
	.addrsig
	.addrsig_sym __hip_cuid_90e2342fcfc62026
	.amdgpu_metadata
---
amdhsa.kernels:
  - .agpr_count:     0
    .args:
      - .actual_access:  read_only
        .address_space:  global
        .offset:         0
        .size:           8
        .value_kind:     global_buffer
      - .address_space:  global
        .offset:         8
        .size:           8
        .value_kind:     global_buffer
      - .actual_access:  read_only
        .address_space:  global
        .offset:         16
        .size:           8
        .value_kind:     global_buffer
      - .actual_access:  read_only
        .address_space:  global
        .offset:         24
        .size:           8
        .value_kind:     global_buffer
      - .offset:         32
        .size:           8
        .value_kind:     by_value
      - .actual_access:  read_only
        .address_space:  global
        .offset:         40
        .size:           8
        .value_kind:     global_buffer
      - .actual_access:  read_only
        .address_space:  global
        .offset:         48
        .size:           8
        .value_kind:     global_buffer
      - .offset:         56
        .size:           4
        .value_kind:     by_value
      - .actual_access:  read_only
        .address_space:  global
        .offset:         64
        .size:           8
        .value_kind:     global_buffer
      - .actual_access:  read_only
        .address_space:  global
        .offset:         72
        .size:           8
        .value_kind:     global_buffer
      - .address_space:  global
        .offset:         80
        .size:           8
        .value_kind:     global_buffer
    .group_segment_fixed_size: 0
    .kernarg_segment_align: 8
    .kernarg_segment_size: 88
    .language:       OpenCL C
    .language_version:
      - 2
      - 0
    .max_flat_workgroup_size: 256
    .name:           fft_rtc_back_len192_factors_2_2_6_8_wgs_256_tpt_16_dim2_sp_ip_CI_sbcc_twdbase8_3step_dirReg_intrinsicReadWrite
    .private_segment_fixed_size: 0
    .sgpr_count:     24
    .sgpr_spill_count: 0
    .symbol:         fft_rtc_back_len192_factors_2_2_6_8_wgs_256_tpt_16_dim2_sp_ip_CI_sbcc_twdbase8_3step_dirReg_intrinsicReadWrite.kd
    .uniform_work_group_size: 1
    .uses_dynamic_stack: false
    .vgpr_count:     171
    .vgpr_spill_count: 0
    .wavefront_size: 64
amdhsa.target:   amdgcn-amd-amdhsa--gfx950
amdhsa.version:
  - 1
  - 2
...

	.end_amdgpu_metadata
